;; amdgpu-corpus repo=ROCm/rocFFT kind=compiled arch=gfx906 opt=O3
	.text
	.amdgcn_target "amdgcn-amd-amdhsa--gfx906"
	.amdhsa_code_object_version 6
	.protected	fft_rtc_fwd_len336_factors_6_7_8_wgs_336_tpt_56_sp_op_CI_CI_sbcc_twdbase8_3step_dirReg ; -- Begin function fft_rtc_fwd_len336_factors_6_7_8_wgs_336_tpt_56_sp_op_CI_CI_sbcc_twdbase8_3step_dirReg
	.globl	fft_rtc_fwd_len336_factors_6_7_8_wgs_336_tpt_56_sp_op_CI_CI_sbcc_twdbase8_3step_dirReg
	.p2align	8
	.type	fft_rtc_fwd_len336_factors_6_7_8_wgs_336_tpt_56_sp_op_CI_CI_sbcc_twdbase8_3step_dirReg,@function
fft_rtc_fwd_len336_factors_6_7_8_wgs_336_tpt_56_sp_op_CI_CI_sbcc_twdbase8_3step_dirReg: ; @fft_rtc_fwd_len336_factors_6_7_8_wgs_336_tpt_56_sp_op_CI_CI_sbcc_twdbase8_3step_dirReg
; %bb.0:
	s_load_dwordx4 s[0:3], s[4:5], 0x18
	s_load_dwordx2 s[30:31], s[4:5], 0x28
	s_mov_b32 s7, 0
	s_mov_b64 s[24:25], 0
	s_waitcnt lgkmcnt(0)
	s_load_dwordx2 s[28:29], s[0:1], 0x8
	s_waitcnt lgkmcnt(0)
	s_add_u32 s8, s28, -1
	s_addc_u32 s9, s29, -1
	s_add_u32 s10, 0, 0xaaa80000
	s_addc_u32 s11, 0, 0xaa
	s_mul_hi_u32 s13, s10, -6
	s_add_i32 s11, s11, 0x2aaaaa00
	s_sub_i32 s13, s13, s10
	s_mul_i32 s16, s11, -6
	s_mul_i32 s12, s10, -6
	s_add_i32 s13, s13, s16
	s_mul_hi_u32 s14, s11, s12
	s_mul_i32 s15, s11, s12
	s_mul_i32 s17, s10, s13
	s_mul_hi_u32 s12, s10, s12
	s_mul_hi_u32 s16, s10, s13
	s_add_u32 s12, s12, s17
	s_addc_u32 s16, 0, s16
	s_add_u32 s12, s12, s15
	s_mul_hi_u32 s17, s11, s13
	s_addc_u32 s12, s16, s14
	s_addc_u32 s14, s17, 0
	s_mul_i32 s13, s11, s13
	s_add_u32 s12, s12, s13
	v_mov_b32_e32 v1, s12
	s_addc_u32 s13, 0, s14
	v_add_co_u32_e32 v1, vcc, s10, v1
	s_cmp_lg_u64 vcc, 0
	s_addc_u32 s10, s11, s13
	v_readfirstlane_b32 s13, v1
	s_mul_i32 s12, s8, s10
	s_mul_hi_u32 s14, s8, s13
	s_mul_hi_u32 s11, s8, s10
	s_add_u32 s12, s14, s12
	s_addc_u32 s11, 0, s11
	s_mul_hi_u32 s15, s9, s13
	s_mul_i32 s13, s9, s13
	s_add_u32 s12, s12, s13
	s_mul_hi_u32 s14, s9, s10
	s_addc_u32 s11, s11, s15
	s_addc_u32 s12, s14, 0
	s_mul_i32 s10, s9, s10
	s_add_u32 s10, s11, s10
	s_addc_u32 s11, 0, s12
	s_add_u32 s12, s10, 1
	s_addc_u32 s13, s11, 0
	s_add_u32 s14, s10, 2
	s_mul_i32 s16, s11, 6
	s_mul_hi_u32 s17, s10, 6
	s_addc_u32 s15, s11, 0
	s_add_i32 s17, s17, s16
	s_mul_i32 s16, s10, 6
	v_mov_b32_e32 v1, s16
	v_sub_co_u32_e32 v1, vcc, s8, v1
	s_cmp_lg_u64 vcc, 0
	s_subb_u32 s8, s9, s17
	v_subrev_co_u32_e32 v2, vcc, 6, v1
	s_cmp_lg_u64 vcc, 0
	s_subb_u32 s9, s8, 0
	v_readfirstlane_b32 s16, v2
	s_cmp_gt_u32 s16, 5
	s_cselect_b32 s16, -1, 0
	s_cmp_eq_u32 s9, 0
	s_cselect_b32 s9, s16, -1
	s_cmp_lg_u32 s9, 0
	s_cselect_b32 s9, s14, s12
	s_cselect_b32 s12, s15, s13
	v_readfirstlane_b32 s13, v1
	s_cmp_gt_u32 s13, 5
	s_cselect_b32 s13, -1, 0
	s_cmp_eq_u32 s8, 0
	s_cselect_b32 s8, s13, -1
	s_cmp_lg_u32 s8, 0
	s_cselect_b32 s9, s9, s10
	s_cselect_b32 s8, s12, s11
	s_add_u32 s34, s9, 1
	s_addc_u32 s35, s8, 0
	v_mov_b32_e32 v1, s34
	v_mov_b32_e32 v2, s35
	v_cmp_lt_u64_e32 vcc, s[6:7], v[1:2]
	s_cbranch_vccnz .LBB0_2
; %bb.1:
	v_cvt_f32_u32_e32 v1, s34
	s_sub_i32 s8, 0, s34
	s_mov_b32 s25, s7
	v_rcp_iflag_f32_e32 v1, v1
	v_mul_f32_e32 v1, 0x4f7ffffe, v1
	v_cvt_u32_f32_e32 v1, v1
	v_readfirstlane_b32 s9, v1
	s_mul_i32 s8, s8, s9
	s_mul_hi_u32 s8, s9, s8
	s_add_i32 s9, s9, s8
	s_mul_hi_u32 s8, s6, s9
	s_mul_i32 s10, s8, s34
	s_sub_i32 s10, s6, s10
	s_add_i32 s9, s8, 1
	s_sub_i32 s11, s10, s34
	s_cmp_ge_u32 s10, s34
	s_cselect_b32 s8, s9, s8
	s_cselect_b32 s10, s11, s10
	s_add_i32 s9, s8, 1
	s_cmp_ge_u32 s10, s34
	s_cselect_b32 s24, s9, s8
.LBB0_2:
	s_load_dwordx4 s[12:15], s[4:5], 0x60
	s_load_dwordx4 s[20:23], s[2:3], 0x0
	;; [unrolled: 1-line block ×3, first 2 shown]
	s_load_dwordx2 s[26:27], s[4:5], 0x0
	s_load_dwordx4 s[16:19], s[4:5], 0x8
	s_mul_i32 s4, s24, s35
	s_mul_hi_u32 s5, s24, s34
	s_add_i32 s5, s5, s4
	s_mul_i32 s4, s24, s34
	s_sub_u32 s52, s6, s4
	s_subb_u32 s4, 0, s5
	s_mul_i32 s4, s4, 6
	s_mul_hi_u32 s51, s52, 6
	s_add_i32 s51, s51, s4
	s_mul_i32 s52, s52, 6
	s_waitcnt lgkmcnt(0)
	s_mul_i32 s33, s10, s51
	s_mul_hi_u32 s36, s10, s52
	s_add_i32 s33, s36, s33
	s_mul_i32 s36, s11, s52
	s_mul_i32 s4, s22, s51
	s_mul_hi_u32 s5, s22, s52
	s_add_i32 s33, s33, s36
	v_cmp_lt_u64_e64 s[36:37], s[18:19], 3
	s_add_i32 s4, s5, s4
	s_mul_i32 s5, s23, s52
	s_add_i32 s5, s4, s5
	s_mul_i32 s4, s22, s52
	s_mul_i32 s50, s10, s52
	s_and_b64 vcc, exec, s[36:37]
	s_cbranch_vccnz .LBB0_12
; %bb.3:
	s_add_u32 s36, s30, 16
	s_addc_u32 s37, s31, 0
	s_add_u32 s38, s2, 16
	s_addc_u32 s39, s3, 0
	s_add_u32 s40, s0, 16
	v_mov_b32_e32 v1, s18
	s_addc_u32 s41, s1, 0
	s_mov_b64 s[42:43], 2
	s_mov_b32 s44, 0
	v_mov_b32_e32 v2, s19
.LBB0_4:                                ; =>This Inner Loop Header: Depth=1
	s_load_dwordx2 s[46:47], s[40:41], 0x0
	s_waitcnt lgkmcnt(0)
	s_or_b64 s[0:1], s[24:25], s[46:47]
	s_mov_b32 s45, s1
	s_cmp_lg_u64 s[44:45], 0
	s_cbranch_scc0 .LBB0_9
; %bb.5:                                ;   in Loop: Header=BB0_4 Depth=1
	v_cvt_f32_u32_e32 v3, s46
	v_cvt_f32_u32_e32 v4, s47
	s_sub_u32 s0, 0, s46
	s_subb_u32 s1, 0, s47
	v_mac_f32_e32 v3, 0x4f800000, v4
	v_rcp_f32_e32 v3, v3
	v_mul_f32_e32 v3, 0x5f7ffffc, v3
	v_mul_f32_e32 v4, 0x2f800000, v3
	v_trunc_f32_e32 v4, v4
	v_mac_f32_e32 v3, 0xcf800000, v4
	v_cvt_u32_f32_e32 v4, v4
	v_cvt_u32_f32_e32 v3, v3
	v_readfirstlane_b32 s45, v4
	v_readfirstlane_b32 s48, v3
	s_mul_i32 s49, s0, s45
	s_mul_hi_u32 s54, s0, s48
	s_mul_i32 s53, s1, s48
	s_add_i32 s49, s54, s49
	s_mul_i32 s55, s0, s48
	s_add_i32 s49, s49, s53
	s_mul_hi_u32 s53, s48, s49
	s_mul_i32 s54, s48, s49
	s_mul_hi_u32 s48, s48, s55
	s_add_u32 s48, s48, s54
	s_addc_u32 s53, 0, s53
	s_mul_hi_u32 s56, s45, s55
	s_mul_i32 s55, s45, s55
	s_add_u32 s48, s48, s55
	s_mul_hi_u32 s54, s45, s49
	s_addc_u32 s48, s53, s56
	s_addc_u32 s53, s54, 0
	s_mul_i32 s49, s45, s49
	s_add_u32 s48, s48, s49
	s_addc_u32 s49, 0, s53
	v_add_co_u32_e32 v3, vcc, s48, v3
	s_cmp_lg_u64 vcc, 0
	s_addc_u32 s45, s45, s49
	v_readfirstlane_b32 s49, v3
	s_mul_i32 s48, s0, s45
	s_mul_hi_u32 s53, s0, s49
	s_add_i32 s48, s53, s48
	s_mul_i32 s1, s1, s49
	s_add_i32 s48, s48, s1
	s_mul_i32 s0, s0, s49
	s_mul_hi_u32 s53, s45, s0
	s_mul_i32 s54, s45, s0
	s_mul_i32 s56, s49, s48
	s_mul_hi_u32 s0, s49, s0
	s_mul_hi_u32 s55, s49, s48
	s_add_u32 s0, s0, s56
	s_addc_u32 s49, 0, s55
	s_add_u32 s0, s0, s54
	s_mul_hi_u32 s1, s45, s48
	s_addc_u32 s0, s49, s53
	s_addc_u32 s1, s1, 0
	s_mul_i32 s48, s45, s48
	s_add_u32 s0, s0, s48
	s_addc_u32 s1, 0, s1
	v_add_co_u32_e32 v3, vcc, s0, v3
	s_cmp_lg_u64 vcc, 0
	s_addc_u32 s0, s45, s1
	v_readfirstlane_b32 s48, v3
	s_mul_i32 s45, s24, s0
	s_mul_hi_u32 s49, s24, s48
	s_mul_hi_u32 s1, s24, s0
	s_add_u32 s45, s49, s45
	s_addc_u32 s1, 0, s1
	s_mul_hi_u32 s53, s25, s48
	s_mul_i32 s48, s25, s48
	s_add_u32 s45, s45, s48
	s_mul_hi_u32 s49, s25, s0
	s_addc_u32 s1, s1, s53
	s_addc_u32 s45, s49, 0
	s_mul_i32 s0, s25, s0
	s_add_u32 s48, s1, s0
	s_addc_u32 s45, 0, s45
	s_mul_i32 s0, s46, s45
	s_mul_hi_u32 s1, s46, s48
	s_add_i32 s0, s1, s0
	s_mul_i32 s1, s47, s48
	s_add_i32 s49, s0, s1
	s_mul_i32 s1, s46, s48
	v_mov_b32_e32 v3, s1
	s_sub_i32 s0, s25, s49
	v_sub_co_u32_e32 v3, vcc, s24, v3
	s_cmp_lg_u64 vcc, 0
	s_subb_u32 s53, s0, s47
	v_subrev_co_u32_e64 v4, s[0:1], s46, v3
	s_cmp_lg_u64 s[0:1], 0
	s_subb_u32 s0, s53, 0
	s_cmp_ge_u32 s0, s47
	v_readfirstlane_b32 s53, v4
	s_cselect_b32 s1, -1, 0
	s_cmp_ge_u32 s53, s46
	s_cselect_b32 s53, -1, 0
	s_cmp_eq_u32 s0, s47
	s_cselect_b32 s0, s53, s1
	s_add_u32 s1, s48, 1
	s_addc_u32 s53, s45, 0
	s_add_u32 s54, s48, 2
	s_addc_u32 s55, s45, 0
	s_cmp_lg_u32 s0, 0
	s_cselect_b32 s0, s54, s1
	s_cselect_b32 s1, s55, s53
	s_cmp_lg_u64 vcc, 0
	s_subb_u32 s49, s25, s49
	s_cmp_ge_u32 s49, s47
	v_readfirstlane_b32 s54, v3
	s_cselect_b32 s53, -1, 0
	s_cmp_ge_u32 s54, s46
	s_cselect_b32 s54, -1, 0
	s_cmp_eq_u32 s49, s47
	s_cselect_b32 s49, s54, s53
	s_cmp_lg_u32 s49, 0
	s_cselect_b32 s1, s1, s45
	s_cselect_b32 s0, s0, s48
	s_cbranch_execnz .LBB0_7
.LBB0_6:                                ;   in Loop: Header=BB0_4 Depth=1
	v_cvt_f32_u32_e32 v3, s46
	s_sub_i32 s0, 0, s46
	v_rcp_iflag_f32_e32 v3, v3
	v_mul_f32_e32 v3, 0x4f7ffffe, v3
	v_cvt_u32_f32_e32 v3, v3
	v_readfirstlane_b32 s1, v3
	s_mul_i32 s0, s0, s1
	s_mul_hi_u32 s0, s1, s0
	s_add_i32 s1, s1, s0
	s_mul_hi_u32 s0, s24, s1
	s_mul_i32 s45, s0, s46
	s_sub_i32 s45, s24, s45
	s_add_i32 s1, s0, 1
	s_sub_i32 s48, s45, s46
	s_cmp_ge_u32 s45, s46
	s_cselect_b32 s0, s1, s0
	s_cselect_b32 s45, s48, s45
	s_add_i32 s1, s0, 1
	s_cmp_ge_u32 s45, s46
	s_cselect_b32 s0, s1, s0
	s_mov_b32 s1, s44
.LBB0_7:                                ;   in Loop: Header=BB0_4 Depth=1
	s_mul_i32 s35, s46, s35
	s_mul_hi_u32 s45, s46, s34
	s_add_i32 s35, s45, s35
	s_mul_i32 s45, s47, s34
	s_add_i32 s35, s35, s45
	s_mul_i32 s45, s0, s47
	s_mul_hi_u32 s47, s0, s46
	s_load_dwordx2 s[48:49], s[38:39], 0x0
	s_add_i32 s45, s47, s45
	s_mul_i32 s47, s1, s46
	s_mul_i32 s34, s46, s34
	s_add_i32 s45, s45, s47
	s_mul_i32 s46, s0, s46
	s_sub_u32 s46, s24, s46
	s_subb_u32 s45, s25, s45
	s_waitcnt lgkmcnt(0)
	s_mul_i32 s24, s48, s45
	s_mul_hi_u32 s25, s48, s46
	s_add_i32 s47, s25, s24
	s_load_dwordx2 s[24:25], s[36:37], 0x0
	s_mul_i32 s49, s49, s46
	s_add_i32 s47, s47, s49
	s_mul_i32 s48, s48, s46
	s_add_u32 s4, s48, s4
	s_addc_u32 s5, s47, s5
	s_waitcnt lgkmcnt(0)
	s_mul_i32 s45, s24, s45
	s_mul_hi_u32 s47, s24, s46
	s_add_i32 s45, s47, s45
	s_mul_i32 s25, s25, s46
	s_add_i32 s45, s45, s25
	s_mul_i32 s24, s24, s46
	s_add_u32 s50, s24, s50
	s_addc_u32 s33, s45, s33
	s_add_u32 s42, s42, 1
	s_addc_u32 s43, s43, 0
	;; [unrolled: 2-line block ×4, first 2 shown]
	v_cmp_ge_u64_e32 vcc, s[42:43], v[1:2]
	s_add_u32 s40, s40, 8
	s_addc_u32 s41, s41, 0
	s_cbranch_vccnz .LBB0_10
; %bb.8:                                ;   in Loop: Header=BB0_4 Depth=1
	s_mov_b64 s[24:25], s[0:1]
	s_branch .LBB0_4
.LBB0_9:                                ;   in Loop: Header=BB0_4 Depth=1
                                        ; implicit-def: $sgpr0_sgpr1
	s_branch .LBB0_6
.LBB0_10:
	v_mov_b32_e32 v1, s34
	v_mov_b32_e32 v2, s35
	v_cmp_lt_u64_e32 vcc, s[6:7], v[1:2]
	s_mov_b64 s[24:25], 0
	s_cbranch_vccnz .LBB0_12
; %bb.11:
	v_cvt_f32_u32_e32 v1, s34
	s_sub_i32 s0, 0, s34
	v_rcp_iflag_f32_e32 v1, v1
	v_mul_f32_e32 v1, 0x4f7ffffe, v1
	v_cvt_u32_f32_e32 v1, v1
	v_readfirstlane_b32 s1, v1
	s_mul_i32 s0, s0, s1
	s_mul_hi_u32 s0, s1, s0
	s_add_i32 s1, s1, s0
	s_mul_hi_u32 s0, s6, s1
	s_mul_i32 s7, s0, s34
	s_sub_i32 s6, s6, s7
	s_add_i32 s1, s0, 1
	s_sub_i32 s7, s6, s34
	s_cmp_ge_u32 s6, s34
	s_cselect_b32 s0, s1, s0
	s_cselect_b32 s6, s7, s6
	s_add_i32 s1, s0, 1
	s_cmp_ge_u32 s6, s34
	s_cselect_b32 s24, s1, s0
.LBB0_12:
	v_mul_u32_u24_e32 v1, 0x2aab, v0
	v_lshrrev_b32_e32 v27, 16, v1
	s_lshl_b64 s[34:35], s[18:19], 3
	v_mul_lo_u16_e32 v1, 6, v27
	s_add_u32 s6, s30, s34
	v_sub_u16_e32 v28, v0, v1
	s_addc_u32 s7, s31, s35
	v_mov_b32_e32 v1, s51
	v_add_co_u32_e32 v25, vcc, s52, v28
	v_addc_co_u32_e32 v26, vcc, 0, v1, vcc
	s_add_u32 s0, s52, 6
	v_mov_b32_e32 v1, s28
	s_addc_u32 s1, s51, 0
	v_mov_b32_e32 v2, s29
	v_cmp_le_u64_e32 vcc, s[0:1], v[1:2]
	v_cmp_gt_u64_e64 s[0:1], s[28:29], v[25:26]
                                        ; implicit-def: $vgpr12
                                        ; implicit-def: $vgpr7
                                        ; implicit-def: $vgpr4
                                        ; implicit-def: $vgpr2
                                        ; implicit-def: $vgpr14
                                        ; implicit-def: $vgpr9
	s_or_b64 s[28:29], vcc, s[0:1]
	s_and_saveexec_b64 s[18:19], s[28:29]
	s_cbranch_execz .LBB0_14
; %bb.13:
	s_add_u32 s2, s2, s34
	s_addc_u32 s3, s3, s35
	s_load_dwordx2 s[2:3], s[2:3], 0x0
	v_mad_u64_u32 v[1:2], s[28:29], s22, v28, 0
	v_mad_u64_u32 v[3:4], s[28:29], s20, v27, 0
	s_waitcnt lgkmcnt(0)
	s_mul_i32 s3, s3, s24
	s_mul_hi_u32 s25, s2, s24
	s_add_i32 s3, s25, s3
	s_mul_i32 s2, s2, s24
	v_mad_u64_u32 v[5:6], s[22:23], s23, v28, v[2:3]
	v_mov_b32_e32 v2, v4
	s_lshl_b64 s[2:3], s[2:3], 3
	v_mad_u64_u32 v[6:7], s[22:23], s21, v27, v[2:3]
	s_add_u32 s12, s12, s2
	s_addc_u32 s13, s13, s3
	s_lshl_b64 s[2:3], s[4:5], 3
	s_add_u32 s4, s12, s2
	s_addc_u32 s2, s13, s3
	v_add_u32_e32 v8, 56, v27
	v_mov_b32_e32 v2, v5
	v_mov_b32_e32 v4, v6
	;; [unrolled: 1-line block ×3, first 2 shown]
	v_mad_u64_u32 v[5:6], s[2:3], s20, v8, 0
	v_lshlrev_b64 v[1:2], 3, v[1:2]
	v_add_u32_e32 v26, 0x118, v27
	v_add_co_u32_e64 v23, s[2:3], s4, v1
	v_addc_co_u32_e64 v24, s[2:3], v7, v2, s[2:3]
	v_lshlrev_b64 v[1:2], 3, v[3:4]
	v_mov_b32_e32 v3, v6
	v_mad_u64_u32 v[3:4], s[2:3], s21, v8, v[3:4]
	v_add_u32_e32 v4, 0x70, v27
	v_mad_u64_u32 v[7:8], s[2:3], s20, v4, 0
	v_add_co_u32_e64 v9, s[2:3], v23, v1
	v_mov_b32_e32 v6, v3
	v_mov_b32_e32 v3, v8
	v_addc_co_u32_e64 v10, s[2:3], v24, v2, s[2:3]
	v_lshlrev_b64 v[1:2], 3, v[5:6]
	v_mad_u64_u32 v[3:4], s[2:3], s21, v4, v[3:4]
	v_add_u32_e32 v6, 0xa8, v27
	v_mad_u64_u32 v[4:5], s[2:3], s20, v6, 0
	v_add_co_u32_e64 v13, s[2:3], v23, v1
	v_mov_b32_e32 v8, v3
	v_addc_co_u32_e64 v14, s[2:3], v24, v2, s[2:3]
	v_lshlrev_b64 v[1:2], 3, v[7:8]
	v_mov_b32_e32 v3, v5
	v_mad_u64_u32 v[5:6], s[2:3], s21, v6, v[3:4]
	v_add_co_u32_e64 v15, s[2:3], v23, v1
	v_add_u32_e32 v3, 0xe0, v27
	v_addc_co_u32_e64 v16, s[2:3], v24, v2, s[2:3]
	v_mad_u64_u32 v[17:18], s[2:3], s20, v3, 0
	v_lshlrev_b64 v[1:2], 3, v[4:5]
	v_add_co_u32_e64 v19, s[2:3], v23, v1
	v_mov_b32_e32 v1, v18
	v_addc_co_u32_e64 v20, s[2:3], v24, v2, s[2:3]
	v_mad_u64_u32 v[5:6], s[2:3], s21, v3, v[1:2]
	global_load_dwordx2 v[11:12], v[9:10], off
	global_load_dwordx2 v[6:7], v[13:14], off
	;; [unrolled: 1-line block ×4, first 2 shown]
	v_mad_u64_u32 v[21:22], s[2:3], s20, v26, 0
	v_mov_b32_e32 v18, v5
	v_lshlrev_b64 v[8:9], 3, v[17:18]
	v_mov_b32_e32 v5, v22
	s_waitcnt vmcnt(2)
	v_mad_u64_u32 v[13:14], s[2:3], s21, v26, v[5:6]
	v_add_co_u32_e64 v15, s[2:3], v23, v8
	v_mov_b32_e32 v22, v13
	v_addc_co_u32_e64 v16, s[2:3], v24, v9, s[2:3]
	v_lshlrev_b64 v[8:9], 3, v[21:22]
	v_add_co_u32_e64 v17, s[2:3], v23, v8
	v_addc_co_u32_e64 v18, s[2:3], v24, v9, s[2:3]
	global_load_dwordx2 v[13:14], v[15:16], off
	global_load_dwordx2 v[8:9], v[17:18], off
.LBB0_14:
	s_or_b64 exec, exec, s[18:19]
	s_waitcnt vmcnt(3)
	v_add_f32_e32 v5, v11, v3
	s_waitcnt vmcnt(1)
	v_add_f32_e32 v10, v5, v13
	v_add_f32_e32 v5, v3, v13
	v_fmac_f32_e32 v11, -0.5, v5
	v_sub_f32_e32 v5, v4, v14
	v_mov_b32_e32 v15, v11
	v_fmac_f32_e32 v15, 0x3f5db3d7, v5
	v_fmac_f32_e32 v11, 0xbf5db3d7, v5
	v_add_f32_e32 v5, v12, v4
	v_add_f32_e32 v4, v4, v14
	v_fmac_f32_e32 v12, -0.5, v4
	v_sub_f32_e32 v3, v3, v13
	v_mov_b32_e32 v13, v12
	v_fmac_f32_e32 v13, 0xbf5db3d7, v3
	v_fmac_f32_e32 v12, 0x3f5db3d7, v3
	v_add_f32_e32 v3, v6, v1
	v_add_f32_e32 v16, v5, v14
	s_waitcnt vmcnt(0)
	v_add_f32_e32 v14, v3, v8
	v_add_f32_e32 v3, v1, v8
	v_fmac_f32_e32 v6, -0.5, v3
	v_sub_f32_e32 v3, v2, v9
	v_mov_b32_e32 v4, v6
	v_fmac_f32_e32 v4, 0x3f5db3d7, v3
	v_fmac_f32_e32 v6, 0xbf5db3d7, v3
	v_add_f32_e32 v3, v7, v2
	v_add_f32_e32 v2, v2, v9
	v_fmac_f32_e32 v7, -0.5, v2
	s_load_dwordx2 s[4:5], s[6:7], 0x0
	v_sub_f32_e32 v1, v1, v8
	v_mov_b32_e32 v8, v7
	v_fmac_f32_e32 v8, 0xbf5db3d7, v1
	v_fmac_f32_e32 v7, 0x3f5db3d7, v1
	v_mul_f32_e32 v19, 0xbf5db3d7, v4
	v_add_f32_e32 v17, v3, v9
	v_mul_f32_e32 v9, 0.5, v4
	v_mul_f32_e32 v18, -0.5, v6
	v_fmac_f32_e32 v19, 0.5, v8
	v_mul_f32_e32 v20, -0.5, v7
	s_movk_i32 s2, 0x120
	v_add_f32_e32 v1, v10, v14
	v_fmac_f32_e32 v9, 0x3f5db3d7, v8
	v_fmac_f32_e32 v18, 0x3f5db3d7, v7
	v_add_f32_e32 v4, v13, v19
	v_fmac_f32_e32 v20, 0xbf5db3d7, v6
	v_sub_f32_e32 v7, v10, v14
	v_sub_f32_e32 v10, v13, v19
	v_mad_u32_u24 v13, v27, s2, 0
	v_add_f32_e32 v3, v15, v9
	v_add_f32_e32 v5, v11, v18
	;; [unrolled: 1-line block ×4, first 2 shown]
	v_sub_f32_e32 v9, v15, v9
	v_sub_f32_e32 v11, v11, v18
	;; [unrolled: 1-line block ×4, first 2 shown]
	v_lshl_add_u32 v14, v28, 3, v13
	v_cmp_gt_u32_e64 s[2:3], s2, v0
	v_lshlrev_b32_e32 v15, 3, v28
	ds_write2_b64 v14, v[1:2], v[3:4] offset1:6
	ds_write2_b64 v14, v[5:6], v[7:8] offset0:12 offset1:18
	ds_write2_b64 v14, v[9:10], v[11:12] offset0:24 offset1:30
	s_waitcnt lgkmcnt(0)
	s_barrier
	s_waitcnt lgkmcnt(0)
                                        ; implicit-def: $vgpr14
	s_and_saveexec_b64 s[6:7], s[2:3]
	s_cbranch_execz .LBB0_16
; %bb.15:
	v_mul_i32_i24_e32 v1, 0xffffff10, v27
	v_add3_u32 v13, v13, v1, v15
	ds_read_b64 v[1:2], v13
	ds_read_b64 v[3:4], v13 offset:2304
	ds_read_b64 v[5:6], v13 offset:4608
	;; [unrolled: 1-line block ×6, first 2 shown]
.LBB0_16:
	s_or_b64 exec, exec, s[6:7]
	v_mul_lo_u16_e32 v16, 43, v27
	v_lshrrev_b16_e32 v16, 8, v16
	v_mul_lo_u16_e32 v17, 6, v16
	v_sub_u16_e32 v17, v27, v17
	v_and_b32_e32 v19, 0xff, v17
	v_mul_u32_u24_e32 v17, 6, v19
	v_lshlrev_b32_e32 v17, 3, v17
	global_load_dwordx4 v[20:23], v17, s[26:27]
	global_load_dwordx4 v[29:32], v17, s[26:27] offset:16
	global_load_dwordx4 v[33:36], v17, s[26:27] offset:32
	s_mov_b32 s7, 0x3f3bfb3b
	s_mov_b32 s12, 0xbf3bfb3b
	;; [unrolled: 1-line block ×3, first 2 shown]
	s_waitcnt vmcnt(0) lgkmcnt(0)
	s_barrier
	v_mul_f32_e32 v17, v4, v21
	v_mul_f32_e32 v18, v3, v21
	;; [unrolled: 1-line block ×12, first 2 shown]
	v_fma_f32 v3, v3, v20, -v17
	v_fmac_f32_e32 v18, v4, v20
	v_fma_f32 v4, v5, v22, -v21
	v_fmac_f32_e32 v23, v6, v22
	v_fma_f32 v5, v7, v29, -v24
	v_fmac_f32_e32 v26, v8, v29
	v_fma_f32 v7, v11, v33, -v37
	v_fmac_f32_e32 v34, v12, v33
	v_fma_f32 v8, v13, v35, -v38
	v_fmac_f32_e32 v36, v14, v35
	v_fma_f32 v6, v9, v31, -v30
	v_fmac_f32_e32 v32, v10, v31
	v_add_f32_e32 v9, v3, v8
	v_add_f32_e32 v10, v18, v36
	;; [unrolled: 1-line block ×4, first 2 shown]
	v_sub_f32_e32 v3, v3, v8
	v_sub_f32_e32 v8, v18, v36
	;; [unrolled: 1-line block ×4, first 2 shown]
	v_add_f32_e32 v13, v5, v6
	v_add_f32_e32 v14, v26, v32
	v_sub_f32_e32 v5, v6, v5
	v_sub_f32_e32 v6, v32, v26
	v_add_f32_e32 v17, v11, v9
	v_add_f32_e32 v18, v12, v10
	v_sub_f32_e32 v20, v11, v9
	v_sub_f32_e32 v21, v12, v10
	;; [unrolled: 1-line block ×4, first 2 shown]
	v_add_f32_e32 v22, v5, v4
	v_sub_f32_e32 v23, v5, v4
	v_add_f32_e32 v24, v6, v7
	v_sub_f32_e32 v26, v6, v7
	v_sub_f32_e32 v29, v7, v8
	;; [unrolled: 1-line block ×4, first 2 shown]
	v_add_f32_e32 v10, v13, v17
	v_add_f32_e32 v13, v14, v18
	v_sub_f32_e32 v4, v4, v3
	v_sub_f32_e32 v5, v3, v5
	;; [unrolled: 1-line block ×3, first 2 shown]
	v_add_f32_e32 v3, v22, v3
	v_add_f32_e32 v14, v24, v8
	v_mul_f32_e32 v18, 0xbf08b237, v23
	v_mul_f32_e32 v8, 0x3d64c772, v11
	;; [unrolled: 1-line block ×5, first 2 shown]
	v_add_f32_e32 v1, v1, v10
	v_add_f32_e32 v2, v2, v13
	v_mul_f32_e32 v17, 0xbf08b237, v26
	v_fma_f32 v7, v20, s7, -v8
	v_fma_f32 v8, v21, s7, -v22
	;; [unrolled: 1-line block ×3, first 2 shown]
	v_fmac_f32_e32 v23, 0x3d64c772, v11
	v_fma_f32 v11, v21, s12, -v24
	v_fmac_f32_e32 v24, 0x3d64c772, v12
	v_mov_b32_e32 v12, v1
	v_mov_b32_e32 v21, v2
	v_fma_f32 v22, v4, s6, -v18
	v_fma_f32 v9, v29, s6, -v17
	v_fmac_f32_e32 v12, 0xbf955555, v10
	v_fmac_f32_e32 v21, 0xbf955555, v13
	;; [unrolled: 1-line block ×4, first 2 shown]
	v_add_f32_e32 v10, v7, v12
	v_add_f32_e32 v13, v8, v21
	v_mul_f32_e32 v4, 0x3f5ff5aa, v4
	s_mov_b32 s6, 0xbeae86e6
	v_sub_f32_e32 v7, v10, v9
	v_add_f32_e32 v8, v22, v13
	v_add_f32_e32 v9, v9, v10
	v_sub_f32_e32 v10, v13, v22
	v_fma_f32 v13, v5, s6, -v4
	v_mul_f32_e32 v4, 0x3f5ff5aa, v29
	v_fmac_f32_e32 v18, 0x3eae86e6, v5
	v_fmac_f32_e32 v17, 0x3eae86e6, v6
	v_fma_f32 v22, v6, s6, -v4
	v_add_f32_e32 v23, v23, v12
	v_add_f32_e32 v12, v20, v12
	;; [unrolled: 1-line block ×4, first 2 shown]
	v_fmac_f32_e32 v18, 0x3ee1c552, v3
	v_fmac_f32_e32 v13, 0x3ee1c552, v3
	;; [unrolled: 1-line block ×4, first 2 shown]
	v_add_f32_e32 v3, v17, v23
	v_sub_f32_e32 v4, v20, v18
	v_add_f32_e32 v5, v22, v12
	v_sub_f32_e32 v6, v21, v13
	v_sub_f32_e32 v11, v12, v22
	v_add_f32_e32 v12, v13, v21
	v_sub_f32_e32 v17, v23, v17
	v_add_f32_e32 v18, v18, v20
	s_and_saveexec_b64 s[6:7], s[2:3]
	s_cbranch_execz .LBB0_18
; %bb.17:
	v_mad_u32_u24 v13, v16, 42, v19
	v_mul_u32_u24_e32 v13, 48, v13
	v_add3_u32 v13, 0, v13, v15
	ds_write2_b64 v13, v[1:2], v[3:4] offset1:36
	ds_write2_b64 v13, v[5:6], v[7:8] offset0:72 offset1:108
	ds_write2_b64 v13, v[9:10], v[11:12] offset0:144 offset1:180
	ds_write_b64 v13, v[17:18] offset:1728
.LBB0_18:
	s_or_b64 exec, exec, s[6:7]
	s_movk_i32 s2, 0xfc
	v_cmp_gt_u32_e64 s[2:3], s2, v0
	s_waitcnt lgkmcnt(0)
	s_barrier
	s_and_saveexec_b64 s[6:7], s[2:3]
	s_cbranch_execz .LBB0_20
; %bb.19:
	v_mul_u32_u24_e32 v0, 48, v27
	v_add3_u32 v0, 0, v0, v15
	ds_read2_b64 v[1:4], v0 offset1:252
	v_add_u32_e32 v5, 0xfc0, v0
	v_add_u32_e32 v9, 0x1f80, v0
	;; [unrolled: 1-line block ×3, first 2 shown]
	ds_read2_b64 v[5:8], v5 offset1:252
	ds_read2_b64 v[9:12], v9 offset1:252
	;; [unrolled: 1-line block ×3, first 2 shown]
.LBB0_20:
	s_or_b64 exec, exec, s[6:7]
	v_mul_lo_u16_e32 v0, 49, v27
	v_lshrrev_b16_e32 v0, 11, v0
	v_mul_lo_u16_e32 v0, 42, v0
	v_sub_u16_e32 v0, v27, v0
	v_and_b32_e32 v0, 0xff, v0
	v_mul_u32_u24_e32 v13, 7, v0
	v_lshlrev_b32_e32 v21, 3, v13
	global_load_dwordx2 v[35:36], v21, s[26:27] offset:336
	global_load_dwordx4 v[31:34], v21, s[26:27] offset:320
	global_load_dwordx4 v[13:16], v21, s[26:27] offset:304
	v_mul_lo_u32 v30, v25, v0
	v_add_u32_e32 v29, 42, v0
	v_mov_b32_e32 v26, 3
	v_mul_lo_u32 v41, v25, v29
	v_lshlrev_b32_sdwa v29, v26, v30 dst_sel:DWORD dst_unused:UNUSED_PAD src0_sel:DWORD src1_sel:BYTE_0
	global_load_dwordx4 v[21:24], v21, s[26:27] offset:288
	v_lshlrev_b32_sdwa v42, v26, v30 dst_sel:DWORD dst_unused:UNUSED_PAD src0_sel:DWORD src1_sel:BYTE_1
	global_load_dwordx2 v[37:38], v29, s[16:17]
	global_load_dwordx2 v[39:40], v42, s[16:17] offset:2048
	v_lshlrev_b32_sdwa v42, v26, v41 dst_sel:DWORD dst_unused:UNUSED_PAD src0_sel:DWORD src1_sel:BYTE_0
	s_mul_i32 s5, s5, s24
	s_mul_hi_u32 s6, s4, s24
	s_add_i32 s5, s6, s5
	s_mul_i32 s4, s4, s24
	s_add_u32 s6, s4, s50
	s_addc_u32 s7, s5, s33
	s_and_b64 s[4:5], s[2:3], vcc
	s_waitcnt vmcnt(5) lgkmcnt(0)
	v_mul_f32_e32 v43, v20, v36
	v_mul_f32_e32 v29, v19, v36
	v_fma_f32 v19, v19, v35, -v43
	v_fmac_f32_e32 v29, v20, v35
	s_waitcnt vmcnt(4)
	v_mul_f32_e32 v35, v18, v34
	v_mul_f32_e32 v20, v17, v34
	v_fma_f32 v17, v17, v33, -v35
	v_fmac_f32_e32 v20, v18, v33
	v_lshlrev_b32_sdwa v35, v26, v41 dst_sel:DWORD dst_unused:UNUSED_PAD src0_sel:DWORD src1_sel:BYTE_1
	v_mul_f32_e32 v36, v12, v32
	v_mul_f32_e32 v18, v11, v32
	global_load_dwordx2 v[33:34], v42, s[16:17]
	v_fma_f32 v11, v11, v31, -v36
	v_fmac_f32_e32 v18, v12, v31
	global_load_dwordx2 v[31:32], v35, s[16:17] offset:2048
	s_waitcnt vmcnt(5)
	v_mul_f32_e32 v35, v10, v16
	v_mul_f32_e32 v36, v9, v16
	v_fma_f32 v35, v9, v15, -v35
	v_add_u32_e32 v9, 0x54, v0
	v_mul_lo_u32 v42, v25, v9
	v_fmac_f32_e32 v36, v10, v15
	v_add_u32_e32 v10, 0x7e, v0
	v_mul_lo_u32 v43, v25, v10
	v_mul_f32_e32 v44, v7, v14
	v_mov_b32_e32 v12, 0x1000
	v_bfe_u32 v9, v30, 16, 8
	v_mul_f32_e32 v10, v8, v14
	v_fmac_f32_e32 v44, v8, v13
	s_waitcnt vmcnt(4)
	v_mul_f32_e32 v8, v6, v24
	v_fma_f32 v45, v7, v13, -v10
	v_lshlrev_b32_sdwa v7, v26, v42 dst_sel:DWORD dst_unused:UNUSED_PAD src0_sel:DWORD src1_sel:BYTE_1
	v_mul_f32_e32 v46, v5, v24
	v_fma_f32 v47, v5, v23, -v8
	v_lshl_or_b32 v8, v9, 3, v12
	v_bfe_u32 v9, v41, 16, 8
	v_mul_f32_e32 v5, v4, v22
	v_mul_f32_e32 v41, v3, v22
	v_lshlrev_b32_sdwa v13, v26, v42 dst_sel:DWORD dst_unused:UNUSED_PAD src0_sel:DWORD src1_sel:BYTE_0
	v_fmac_f32_e32 v46, v6, v23
	v_fma_f32 v48, v3, v21, -v5
	v_fmac_f32_e32 v41, v4, v21
	global_load_dwordx2 v[3:4], v7, s[16:17] offset:2048
	global_load_dwordx2 v[5:6], v8, s[16:17]
	s_waitcnt vmcnt(4)
	v_mul_f32_e32 v7, v38, v40
	v_lshlrev_b32_sdwa v23, v26, v43 dst_sel:DWORD dst_unused:UNUSED_PAD src0_sel:DWORD src1_sel:BYTE_0
	v_lshl_or_b32 v14, v9, 3, v12
	v_mul_f32_e32 v40, v37, v40
	v_fma_f32 v37, v37, v39, -v7
	global_load_dwordx2 v[7:8], v13, s[16:17]
	global_load_dwordx2 v[9:10], v14, s[16:17]
	v_lshlrev_b32_sdwa v24, v26, v43 dst_sel:DWORD dst_unused:UNUSED_PAD src0_sel:DWORD src1_sel:BYTE_1
	v_fmac_f32_e32 v40, v38, v39
	v_bfe_u32 v21, v42, 16, 8
	v_bfe_u32 v22, v43, 16, 8
	v_lshl_or_b32 v21, v21, 3, v12
	v_lshl_or_b32 v22, v22, 3, v12
	v_sub_f32_e32 v20, v46, v20
	v_sub_f32_e32 v29, v44, v29
	s_waitcnt vmcnt(4)
	v_mul_f32_e32 v13, v34, v32
	v_fma_f32 v39, v33, v31, -v13
	global_load_dwordx2 v[13:14], v23, s[16:17]
	global_load_dwordx2 v[15:16], v24, s[16:17] offset:2048
	v_mul_f32_e32 v38, v33, v32
	v_fmac_f32_e32 v38, v34, v31
	s_waitcnt vmcnt(3)
	v_mul_f32_e32 v23, v8, v4
	v_mul_f32_e32 v34, v7, v4
	v_fma_f32 v42, v7, v3, -v23
	v_fmac_f32_e32 v34, v8, v3
	global_load_dwordx2 v[3:4], v22, s[16:17]
	global_load_dwordx2 v[7:8], v21, s[16:17]
	s_waitcnt vmcnt(2)
	v_mul_f32_e32 v21, v14, v16
	v_mul_f32_e32 v43, v13, v16
	v_fma_f32 v49, v13, v15, -v21
	v_add_u32_e32 v13, 0xa8, v0
	v_mul_lo_u32 v13, v25, v13
	v_fmac_f32_e32 v43, v14, v15
	v_lshlrev_b32_sdwa v23, v26, v13 dst_sel:DWORD dst_unused:UNUSED_PAD src0_sel:DWORD src1_sel:BYTE_0
	v_lshlrev_b32_sdwa v24, v26, v13 dst_sel:DWORD dst_unused:UNUSED_PAD src0_sel:DWORD src1_sel:BYTE_1
	v_bfe_u32 v13, v13, 16, 8
	v_lshl_or_b32 v30, v13, 3, v12
	global_load_dwordx2 v[13:14], v23, s[16:17]
	global_load_dwordx2 v[15:16], v24, s[16:17] offset:2048
	global_load_dwordx2 v[21:22], v30, s[16:17]
	s_waitcnt vmcnt(1)
	v_mul_f32_e32 v23, v14, v16
	v_fma_f32 v50, v13, v15, -v23
	v_mul_f32_e32 v51, v13, v16
	v_add_u32_e32 v13, 0xd2, v0
	v_mul_lo_u32 v13, v25, v13
	v_fmac_f32_e32 v51, v14, v15
	v_add_u32_e32 v14, 0xfc, v0
	v_mul_lo_u32 v52, v25, v14
	v_lshlrev_b32_sdwa v23, v26, v13 dst_sel:DWORD dst_unused:UNUSED_PAD src0_sel:DWORD src1_sel:BYTE_0
	v_lshlrev_b32_sdwa v24, v26, v13 dst_sel:DWORD dst_unused:UNUSED_PAD src0_sel:DWORD src1_sel:BYTE_1
	v_bfe_u32 v13, v13, 16, 8
	v_lshl_or_b32 v53, v13, 3, v12
	global_load_dwordx2 v[13:14], v23, s[16:17]
	global_load_dwordx2 v[15:16], v24, s[16:17] offset:2048
	v_lshlrev_b32_sdwa v54, v26, v52 dst_sel:DWORD dst_unused:UNUSED_PAD src0_sel:DWORD src1_sel:BYTE_0
	v_lshlrev_b32_sdwa v55, v26, v52 dst_sel:DWORD dst_unused:UNUSED_PAD src0_sel:DWORD src1_sel:BYTE_1
	global_load_dwordx2 v[23:24], v53, s[16:17]
	global_load_dwordx2 v[30:31], v54, s[16:17]
	global_load_dwordx2 v[32:33], v55, s[16:17] offset:2048
	v_add_u32_e32 v0, 0x126, v0
	v_mul_lo_u32 v0, v25, v0
	s_waitcnt vmcnt(3)
	v_mul_f32_e32 v53, v14, v16
	v_mul_f32_e32 v54, v13, v16
	v_fma_f32 v53, v13, v15, -v53
	v_fmac_f32_e32 v54, v14, v15
	v_mul_f32_e32 v15, v40, v6
	v_mul_f32_e32 v6, v37, v6
	v_fma_f32 v15, v5, v37, -v15
	v_fmac_f32_e32 v6, v5, v40
	v_mul_f32_e32 v5, v38, v10
	v_sub_f32_e32 v13, v1, v35
	v_sub_f32_e32 v14, v2, v36
	v_fma_f32 v35, v9, v39, -v5
	v_mul_f32_e32 v36, v39, v10
	v_mul_f32_e32 v5, v34, v8
	;; [unrolled: 1-line block ×3, first 2 shown]
	v_fmac_f32_e32 v36, v9, v38
	v_fma_f32 v9, v7, v42, -v5
	v_fmac_f32_e32 v8, v7, v34
	v_mul_f32_e32 v5, v43, v4
	v_mul_f32_e32 v34, v49, v4
	v_fma_f32 v7, v3, v49, -v5
	v_fmac_f32_e32 v34, v3, v43
	v_mul_f32_e32 v3, v51, v22
	v_mul_f32_e32 v22, v50, v22
	v_sub_f32_e32 v39, v41, v18
	v_fma_f32 v2, v2, 2.0, -v14
	v_fma_f32 v37, v21, v50, -v3
	v_fmac_f32_e32 v22, v21, v51
	v_sub_f32_e32 v21, v47, v17
	v_fma_f32 v4, v46, 2.0, -v20
	v_sub_f32_e32 v38, v48, v11
	v_fma_f32 v10, v41, 2.0, -v39
	;; [unrolled: 2-line block ×3, first 2 shown]
	v_fma_f32 v1, v1, 2.0, -v13
	v_fma_f32 v3, v47, 2.0, -v21
	;; [unrolled: 1-line block ×4, first 2 shown]
	v_sub_f32_e32 v42, v2, v4
	v_sub_f32_e32 v44, v10, v16
	;; [unrolled: 1-line block ×3, first 2 shown]
	v_fma_f32 v2, v2, 2.0, -v42
	v_sub_f32_e32 v43, v5, v11
	v_fma_f32 v4, v10, 2.0, -v44
	v_fma_f32 v1, v1, 2.0, -v41
	;; [unrolled: 1-line block ×3, first 2 shown]
	v_sub_f32_e32 v46, v2, v4
	v_sub_f32_e32 v45, v1, v3
	v_fma_f32 v47, v2, 2.0, -v46
	v_bfe_u32 v2, v52, 16, 8
	v_fma_f32 v1, v1, 2.0, -v45
	v_lshl_or_b32 v2, v2, 3, v12
	v_mul_f32_e32 v4, v47, v6
	global_load_dwordx2 v[2:3], v2, s[16:17]
	v_fma_f32 v10, v1, v15, -v4
	v_mul_f32_e32 v11, v1, v6
	v_lshlrev_b32_sdwa v1, v26, v0 dst_sel:DWORD dst_unused:UNUSED_PAD src0_sel:DWORD src1_sel:BYTE_0
	v_lshlrev_b32_sdwa v6, v26, v0 dst_sel:DWORD dst_unused:UNUSED_PAD src0_sel:DWORD src1_sel:BYTE_1
	global_load_dwordx2 v[4:5], v1, s[16:17]
	global_load_dwordx2 v[16:17], v6, s[16:17] offset:2048
	v_bfe_u32 v0, v0, 16, 8
	v_lshl_or_b32 v0, v0, 3, v12
	global_load_dwordx2 v[18:19], v0, s[16:17]
	v_sub_f32_e32 v0, v13, v20
	v_add_f32_e32 v1, v14, v21
	v_fma_f32 v6, v13, 2.0, -v0
	v_fma_f32 v12, v14, 2.0, -v1
	v_sub_f32_e32 v20, v38, v29
	v_add_f32_e32 v21, v39, v40
	v_fma_f32 v13, v38, 2.0, -v20
	v_fma_f32 v14, v39, 2.0, -v21
	v_mov_b32_e32 v25, v6
	v_mov_b32_e32 v26, v12
	v_fmac_f32_e32 v25, 0xbf3504f3, v13
	v_fmac_f32_e32 v26, 0xbf3504f3, v14
	;; [unrolled: 1-line block ×4, first 2 shown]
	v_fma_f32 v6, v6, 2.0, -v25
	v_fma_f32 v14, v12, 2.0, -v26
	v_mul_f32_e32 v12, v14, v36
	v_mul_f32_e32 v13, v6, v36
	v_sub_f32_e32 v29, v41, v44
	v_fma_f32 v12, v6, v35, -v12
	v_fmac_f32_e32 v13, v14, v35
	v_add_f32_e32 v35, v42, v43
	v_fma_f32 v6, v41, 2.0, -v29
	v_fmac_f32_e32 v11, v47, v15
	v_fma_f32 v36, v42, 2.0, -v35
	v_mul_f32_e32 v15, v6, v8
	v_mul_f32_e32 v14, v36, v8
	v_fmac_f32_e32 v15, v36, v9
	v_mov_b32_e32 v36, v0
	v_mov_b32_e32 v38, v1
	v_fmac_f32_e32 v36, 0x3f3504f3, v20
	v_fmac_f32_e32 v38, 0x3f3504f3, v21
	;; [unrolled: 1-line block ×4, first 2 shown]
	v_fma_f32 v0, v0, 2.0, -v36
	v_fma_f32 v1, v1, 2.0, -v38
	v_fma_f32 v14, v6, v9, -v14
	v_mul_f32_e32 v6, v1, v34
	v_mul_f32_e32 v9, v0, v34
	v_fma_f32 v8, v0, v7, -v6
	v_fmac_f32_e32 v9, v1, v7
	v_mul_f32_e32 v0, v46, v22
	s_waitcnt vmcnt(6)
	v_mul_f32_e32 v1, v53, v24
	v_fma_f32 v6, v45, v37, -v0
	v_mul_f32_e32 v0, v54, v24
	v_fmac_f32_e32 v1, v23, v54
	v_fma_f32 v20, v23, v53, -v0
	v_mul_f32_e32 v0, v26, v1
	v_mul_f32_e32 v1, v25, v1
	s_waitcnt vmcnt(4)
	v_mul_f32_e32 v21, v30, v33
	v_fma_f32 v0, v25, v20, -v0
	v_fmac_f32_e32 v1, v26, v20
	v_mul_f32_e32 v20, v31, v33
	v_fmac_f32_e32 v21, v31, v32
	v_mul_f32_e32 v7, v45, v22
	v_fma_f32 v20, v30, v32, -v20
	v_fmac_f32_e32 v7, v46, v37
	s_waitcnt vmcnt(3)
	v_mul_f32_e32 v22, v21, v3
	v_fma_f32 v22, v2, v20, -v22
	v_mul_f32_e32 v3, v20, v3
	v_fmac_f32_e32 v3, v2, v21
	v_mul_f32_e32 v2, v35, v3
	s_waitcnt vmcnt(1)
	v_mul_f32_e32 v20, v5, v17
	v_fma_f32 v20, v4, v16, -v20
	v_mul_f32_e32 v4, v4, v17
	v_fmac_f32_e32 v4, v5, v16
	s_waitcnt vmcnt(0)
	v_mul_f32_e32 v5, v4, v19
	v_fma_f32 v16, v18, v20, -v5
	v_mul_f32_e32 v5, v20, v19
	v_fmac_f32_e32 v5, v18, v4
	v_mul_f32_e32 v3, v29, v3
	v_mul_f32_e32 v4, v38, v5
	;; [unrolled: 1-line block ×3, first 2 shown]
	v_fma_f32 v2, v29, v22, -v2
	v_fmac_f32_e32 v3, v35, v22
	v_fma_f32 v4, v36, v16, -v4
	v_fmac_f32_e32 v5, v38, v16
	v_add_u32_e32 v16, 42, v27
	s_and_saveexec_b64 s[12:13], s[4:5]
	s_cbranch_execz .LBB0_22
; %bb.21:
	v_mad_u64_u32 v[17:18], s[4:5], s10, v28, 0
	v_mad_u64_u32 v[19:20], s[4:5], s8, v27, 0
	v_add_u32_e32 v25, 0x7e, v27
	v_mad_u64_u32 v[21:22], s[4:5], s11, v28, v[18:19]
	v_mov_b32_e32 v18, v20
	v_mad_u64_u32 v[22:23], s[4:5], s9, v27, v[18:19]
	s_lshl_b64 s[4:5], s[6:7], 3
	s_add_u32 s16, s14, s4
	s_addc_u32 s4, s15, s5
	v_mov_b32_e32 v18, v21
	v_mov_b32_e32 v20, v22
	v_mov_b32_e32 v23, s4
	v_mad_u64_u32 v[21:22], s[4:5], s8, v16, 0
	v_lshlrev_b64 v[17:18], 3, v[17:18]
	v_add_co_u32_e64 v24, s[4:5], s16, v17
	v_addc_co_u32_e64 v23, s[4:5], v23, v18, s[4:5]
	v_lshlrev_b64 v[17:18], 3, v[19:20]
	v_mov_b32_e32 v19, v22
	v_mad_u64_u32 v[19:20], s[4:5], s9, v16, v[19:20]
	v_add_co_u32_e64 v17, s[4:5], v24, v17
	v_addc_co_u32_e64 v18, s[4:5], v23, v18, s[4:5]
	v_mov_b32_e32 v22, v19
	global_store_dwordx2 v[17:18], v[10:11], off
	v_lshlrev_b64 v[17:18], 3, v[21:22]
	v_add_u32_e32 v21, 0x54, v27
	v_mad_u64_u32 v[19:20], s[4:5], s8, v21, 0
	v_add_co_u32_e64 v17, s[4:5], v24, v17
	v_addc_co_u32_e64 v18, s[4:5], v23, v18, s[4:5]
	v_mad_u64_u32 v[20:21], s[4:5], s9, v21, v[20:21]
	v_mad_u64_u32 v[21:22], s[4:5], s8, v25, 0
	global_store_dwordx2 v[17:18], v[12:13], off
	v_lshlrev_b64 v[17:18], 3, v[19:20]
	v_mov_b32_e32 v19, v22
	v_mad_u64_u32 v[19:20], s[4:5], s9, v25, v[19:20]
	v_add_co_u32_e64 v17, s[4:5], v24, v17
	v_addc_co_u32_e64 v18, s[4:5], v23, v18, s[4:5]
	v_mov_b32_e32 v22, v19
	global_store_dwordx2 v[17:18], v[14:15], off
	v_lshlrev_b64 v[17:18], 3, v[21:22]
	v_add_u32_e32 v21, 0xa8, v27
	v_mad_u64_u32 v[19:20], s[4:5], s8, v21, 0
	v_add_co_u32_e64 v17, s[4:5], v24, v17
	v_addc_co_u32_e64 v18, s[4:5], v23, v18, s[4:5]
	v_mad_u64_u32 v[20:21], s[4:5], s9, v21, v[20:21]
	v_add_u32_e32 v25, 0xd2, v27
	v_mad_u64_u32 v[21:22], s[4:5], s8, v25, 0
	global_store_dwordx2 v[17:18], v[8:9], off
	v_lshlrev_b64 v[17:18], 3, v[19:20]
	v_mov_b32_e32 v19, v22
	v_mad_u64_u32 v[19:20], s[4:5], s9, v25, v[19:20]
	v_add_co_u32_e64 v17, s[4:5], v24, v17
	v_addc_co_u32_e64 v18, s[4:5], v23, v18, s[4:5]
	v_mov_b32_e32 v22, v19
	global_store_dwordx2 v[17:18], v[6:7], off
	v_lshlrev_b64 v[17:18], 3, v[21:22]
	v_add_u32_e32 v21, 0xfc, v27
	v_mad_u64_u32 v[19:20], s[4:5], s8, v21, 0
	v_add_co_u32_e64 v17, s[4:5], v24, v17
	v_addc_co_u32_e64 v18, s[4:5], v23, v18, s[4:5]
	v_mad_u64_u32 v[20:21], s[4:5], s9, v21, v[20:21]
	v_add_u32_e32 v25, 0x126, v27
	v_mad_u64_u32 v[21:22], s[4:5], s8, v25, 0
	global_store_dwordx2 v[17:18], v[0:1], off
	v_lshlrev_b64 v[17:18], 3, v[19:20]
	v_mov_b32_e32 v19, v22
	v_mad_u64_u32 v[19:20], s[4:5], s9, v25, v[19:20]
	v_add_co_u32_e64 v17, s[4:5], v24, v17
	v_addc_co_u32_e64 v18, s[4:5], v23, v18, s[4:5]
	v_mov_b32_e32 v22, v19
	global_store_dwordx2 v[17:18], v[2:3], off
	v_lshlrev_b64 v[17:18], 3, v[21:22]
	v_add_co_u32_e64 v17, s[4:5], v24, v17
	v_addc_co_u32_e64 v18, s[4:5], v23, v18, s[4:5]
	global_store_dwordx2 v[17:18], v[4:5], off
.LBB0_22:
	s_or_b64 exec, exec, s[12:13]
	s_xor_b64 s[4:5], vcc, -1
	s_and_b64 s[0:1], s[2:3], s[0:1]
	s_and_b64 s[0:1], s[4:5], s[0:1]
	s_and_saveexec_b64 s[2:3], s[0:1]
	s_cbranch_execz .LBB0_24
; %bb.23:
	v_mad_u64_u32 v[17:18], s[0:1], s10, v28, 0
	v_mad_u64_u32 v[19:20], s[0:1], s8, v27, 0
	;; [unrolled: 1-line block ×3, first 2 shown]
	v_mov_b32_e32 v18, v20
	v_mad_u64_u32 v[22:23], s[0:1], s9, v27, v[18:19]
	s_lshl_b64 s[0:1], s[6:7], 3
	s_add_u32 s2, s14, s0
	v_mov_b32_e32 v18, v21
	s_addc_u32 s0, s15, s1
	v_mov_b32_e32 v20, v22
	v_lshlrev_b64 v[17:18], 3, v[17:18]
	v_mov_b32_e32 v23, s0
	v_mad_u64_u32 v[21:22], s[0:1], s8, v16, 0
	v_add_co_u32_e32 v24, vcc, s2, v17
	v_addc_co_u32_e32 v23, vcc, v23, v18, vcc
	v_lshlrev_b64 v[17:18], 3, v[19:20]
	v_mov_b32_e32 v19, v22
	v_mad_u64_u32 v[19:20], s[0:1], s9, v16, v[19:20]
	v_add_co_u32_e32 v16, vcc, v24, v17
	v_addc_co_u32_e32 v17, vcc, v23, v18, vcc
	v_add_u32_e32 v18, 0x54, v27
	global_store_dwordx2 v[16:17], v[10:11], off
	v_mad_u64_u32 v[16:17], s[0:1], s8, v18, 0
	v_mov_b32_e32 v22, v19
	v_add_u32_e32 v20, 0x7e, v27
	v_mad_u64_u32 v[17:18], s[0:1], s9, v18, v[17:18]
	v_lshlrev_b64 v[10:11], 3, v[21:22]
	v_mad_u64_u32 v[18:19], s[0:1], s8, v20, 0
	v_add_co_u32_e32 v10, vcc, v24, v10
	v_addc_co_u32_e32 v11, vcc, v23, v11, vcc
	global_store_dwordx2 v[10:11], v[12:13], off
	v_lshlrev_b64 v[10:11], 3, v[16:17]
	v_mov_b32_e32 v12, v19
	v_mad_u64_u32 v[12:13], s[0:1], s9, v20, v[12:13]
	v_add_co_u32_e32 v10, vcc, v24, v10
	v_addc_co_u32_e32 v11, vcc, v23, v11, vcc
	global_store_dwordx2 v[10:11], v[14:15], off
	v_add_u32_e32 v14, 0xa8, v27
	v_mov_b32_e32 v19, v12
	v_mad_u64_u32 v[12:13], s[0:1], s8, v14, 0
	v_add_u32_e32 v16, 0xd2, v27
	v_lshlrev_b64 v[10:11], 3, v[18:19]
	v_mad_u64_u32 v[13:14], s[0:1], s9, v14, v[13:14]
	v_mad_u64_u32 v[14:15], s[0:1], s8, v16, 0
	v_add_co_u32_e32 v10, vcc, v24, v10
	v_addc_co_u32_e32 v11, vcc, v23, v11, vcc
	global_store_dwordx2 v[10:11], v[8:9], off
	v_mov_b32_e32 v10, v15
	v_mad_u64_u32 v[10:11], s[0:1], s9, v16, v[10:11]
	v_lshlrev_b64 v[8:9], 3, v[12:13]
	v_add_u32_e32 v12, 0x126, v27
	v_add_co_u32_e32 v8, vcc, v24, v8
	v_addc_co_u32_e32 v9, vcc, v23, v9, vcc
	v_mov_b32_e32 v15, v10
	v_add_u32_e32 v10, 0xfc, v27
	global_store_dwordx2 v[8:9], v[6:7], off
	v_mad_u64_u32 v[8:9], s[0:1], s8, v10, 0
	v_lshlrev_b64 v[6:7], 3, v[14:15]
	v_mad_u64_u32 v[9:10], s[0:1], s9, v10, v[9:10]
	v_mad_u64_u32 v[10:11], s[0:1], s8, v12, 0
	v_add_co_u32_e32 v6, vcc, v24, v6
	v_addc_co_u32_e32 v7, vcc, v23, v7, vcc
	global_store_dwordx2 v[6:7], v[0:1], off
	v_mov_b32_e32 v6, v11
	v_mad_u64_u32 v[6:7], s[0:1], s9, v12, v[6:7]
	v_lshlrev_b64 v[0:1], 3, v[8:9]
	v_add_co_u32_e32 v0, vcc, v24, v0
	v_addc_co_u32_e32 v1, vcc, v23, v1, vcc
	v_mov_b32_e32 v11, v6
	global_store_dwordx2 v[0:1], v[2:3], off
	v_lshlrev_b64 v[0:1], 3, v[10:11]
	v_add_co_u32_e32 v0, vcc, v24, v0
	v_addc_co_u32_e32 v1, vcc, v23, v1, vcc
	global_store_dwordx2 v[0:1], v[4:5], off
.LBB0_24:
	s_endpgm
	.section	.rodata,"a",@progbits
	.p2align	6, 0x0
	.amdhsa_kernel fft_rtc_fwd_len336_factors_6_7_8_wgs_336_tpt_56_sp_op_CI_CI_sbcc_twdbase8_3step_dirReg
		.amdhsa_group_segment_fixed_size 0
		.amdhsa_private_segment_fixed_size 0
		.amdhsa_kernarg_size 112
		.amdhsa_user_sgpr_count 6
		.amdhsa_user_sgpr_private_segment_buffer 1
		.amdhsa_user_sgpr_dispatch_ptr 0
		.amdhsa_user_sgpr_queue_ptr 0
		.amdhsa_user_sgpr_kernarg_segment_ptr 1
		.amdhsa_user_sgpr_dispatch_id 0
		.amdhsa_user_sgpr_flat_scratch_init 0
		.amdhsa_user_sgpr_private_segment_size 0
		.amdhsa_uses_dynamic_stack 0
		.amdhsa_system_sgpr_private_segment_wavefront_offset 0
		.amdhsa_system_sgpr_workgroup_id_x 1
		.amdhsa_system_sgpr_workgroup_id_y 0
		.amdhsa_system_sgpr_workgroup_id_z 0
		.amdhsa_system_sgpr_workgroup_info 0
		.amdhsa_system_vgpr_workitem_id 0
		.amdhsa_next_free_vgpr 56
		.amdhsa_next_free_sgpr 57
		.amdhsa_reserve_vcc 1
		.amdhsa_reserve_flat_scratch 0
		.amdhsa_float_round_mode_32 0
		.amdhsa_float_round_mode_16_64 0
		.amdhsa_float_denorm_mode_32 3
		.amdhsa_float_denorm_mode_16_64 3
		.amdhsa_dx10_clamp 1
		.amdhsa_ieee_mode 1
		.amdhsa_fp16_overflow 0
		.amdhsa_exception_fp_ieee_invalid_op 0
		.amdhsa_exception_fp_denorm_src 0
		.amdhsa_exception_fp_ieee_div_zero 0
		.amdhsa_exception_fp_ieee_overflow 0
		.amdhsa_exception_fp_ieee_underflow 0
		.amdhsa_exception_fp_ieee_inexact 0
		.amdhsa_exception_int_div_zero 0
	.end_amdhsa_kernel
	.text
.Lfunc_end0:
	.size	fft_rtc_fwd_len336_factors_6_7_8_wgs_336_tpt_56_sp_op_CI_CI_sbcc_twdbase8_3step_dirReg, .Lfunc_end0-fft_rtc_fwd_len336_factors_6_7_8_wgs_336_tpt_56_sp_op_CI_CI_sbcc_twdbase8_3step_dirReg
                                        ; -- End function
	.section	.AMDGPU.csdata,"",@progbits
; Kernel info:
; codeLenInByte = 6100
; NumSgprs: 61
; NumVgprs: 56
; ScratchSize: 0
; MemoryBound: 0
; FloatMode: 240
; IeeeMode: 1
; LDSByteSize: 0 bytes/workgroup (compile time only)
; SGPRBlocks: 7
; VGPRBlocks: 13
; NumSGPRsForWavesPerEU: 61
; NumVGPRsForWavesPerEU: 56
; Occupancy: 4
; WaveLimiterHint : 1
; COMPUTE_PGM_RSRC2:SCRATCH_EN: 0
; COMPUTE_PGM_RSRC2:USER_SGPR: 6
; COMPUTE_PGM_RSRC2:TRAP_HANDLER: 0
; COMPUTE_PGM_RSRC2:TGID_X_EN: 1
; COMPUTE_PGM_RSRC2:TGID_Y_EN: 0
; COMPUTE_PGM_RSRC2:TGID_Z_EN: 0
; COMPUTE_PGM_RSRC2:TIDIG_COMP_CNT: 0
	.type	__hip_cuid_db7aacf80262840c,@object ; @__hip_cuid_db7aacf80262840c
	.section	.bss,"aw",@nobits
	.globl	__hip_cuid_db7aacf80262840c
__hip_cuid_db7aacf80262840c:
	.byte	0                               ; 0x0
	.size	__hip_cuid_db7aacf80262840c, 1

	.ident	"AMD clang version 19.0.0git (https://github.com/RadeonOpenCompute/llvm-project roc-6.4.0 25133 c7fe45cf4b819c5991fe208aaa96edf142730f1d)"
	.section	".note.GNU-stack","",@progbits
	.addrsig
	.addrsig_sym __hip_cuid_db7aacf80262840c
	.amdgpu_metadata
---
amdhsa.kernels:
  - .args:
      - .actual_access:  read_only
        .address_space:  global
        .offset:         0
        .size:           8
        .value_kind:     global_buffer
      - .address_space:  global
        .offset:         8
        .size:           8
        .value_kind:     global_buffer
      - .offset:         16
        .size:           8
        .value_kind:     by_value
      - .actual_access:  read_only
        .address_space:  global
        .offset:         24
        .size:           8
        .value_kind:     global_buffer
      - .actual_access:  read_only
        .address_space:  global
        .offset:         32
        .size:           8
        .value_kind:     global_buffer
      - .actual_access:  read_only
        .address_space:  global
        .offset:         40
        .size:           8
        .value_kind:     global_buffer
      - .offset:         48
        .size:           8
        .value_kind:     by_value
      - .actual_access:  read_only
        .address_space:  global
        .offset:         56
        .size:           8
        .value_kind:     global_buffer
      - .actual_access:  read_only
        .address_space:  global
        .offset:         64
        .size:           8
        .value_kind:     global_buffer
      - .offset:         72
        .size:           4
        .value_kind:     by_value
      - .actual_access:  read_only
        .address_space:  global
        .offset:         80
        .size:           8
        .value_kind:     global_buffer
      - .actual_access:  read_only
        .address_space:  global
        .offset:         88
        .size:           8
        .value_kind:     global_buffer
      - .actual_access:  read_only
        .address_space:  global
        .offset:         96
        .size:           8
        .value_kind:     global_buffer
      - .actual_access:  write_only
        .address_space:  global
        .offset:         104
        .size:           8
        .value_kind:     global_buffer
    .group_segment_fixed_size: 0
    .kernarg_segment_align: 8
    .kernarg_segment_size: 112
    .language:       OpenCL C
    .language_version:
      - 2
      - 0
    .max_flat_workgroup_size: 336
    .name:           fft_rtc_fwd_len336_factors_6_7_8_wgs_336_tpt_56_sp_op_CI_CI_sbcc_twdbase8_3step_dirReg
    .private_segment_fixed_size: 0
    .sgpr_count:     61
    .sgpr_spill_count: 0
    .symbol:         fft_rtc_fwd_len336_factors_6_7_8_wgs_336_tpt_56_sp_op_CI_CI_sbcc_twdbase8_3step_dirReg.kd
    .uniform_work_group_size: 1
    .uses_dynamic_stack: false
    .vgpr_count:     56
    .vgpr_spill_count: 0
    .wavefront_size: 64
amdhsa.target:   amdgcn-amd-amdhsa--gfx906
amdhsa.version:
  - 1
  - 2
...

	.end_amdgpu_metadata
